;; amdgpu-corpus repo=ROCm/rocFFT kind=compiled arch=gfx906 opt=O3
	.text
	.amdgcn_target "amdgcn-amd-amdhsa--gfx906"
	.amdhsa_code_object_version 6
	.protected	fft_rtc_fwd_len1920_factors_10_6_16_2_wgs_240_tpt_120_halfLds_half_ip_CI_unitstride_sbrr_C2R_dirReg ; -- Begin function fft_rtc_fwd_len1920_factors_10_6_16_2_wgs_240_tpt_120_halfLds_half_ip_CI_unitstride_sbrr_C2R_dirReg
	.globl	fft_rtc_fwd_len1920_factors_10_6_16_2_wgs_240_tpt_120_halfLds_half_ip_CI_unitstride_sbrr_C2R_dirReg
	.p2align	8
	.type	fft_rtc_fwd_len1920_factors_10_6_16_2_wgs_240_tpt_120_halfLds_half_ip_CI_unitstride_sbrr_C2R_dirReg,@function
fft_rtc_fwd_len1920_factors_10_6_16_2_wgs_240_tpt_120_halfLds_half_ip_CI_unitstride_sbrr_C2R_dirReg: ; @fft_rtc_fwd_len1920_factors_10_6_16_2_wgs_240_tpt_120_halfLds_half_ip_CI_unitstride_sbrr_C2R_dirReg
; %bb.0:
	s_load_dwordx2 s[2:3], s[4:5], 0x50
	s_load_dwordx4 s[8:11], s[4:5], 0x0
	s_load_dwordx2 s[12:13], s[4:5], 0x18
	v_mul_u32_u24_e32 v1, 0x223, v0
	v_lshrrev_b32_e32 v9, 16, v1
	v_mov_b32_e32 v3, 0
	s_waitcnt lgkmcnt(0)
	v_cmp_lt_u64_e64 s[0:1], s[10:11], 2
	v_mov_b32_e32 v1, 0
	v_lshl_add_u32 v5, s6, 1, v9
	v_mov_b32_e32 v6, v3
	s_and_b64 vcc, exec, s[0:1]
	v_mov_b32_e32 v2, 0
	s_cbranch_vccnz .LBB0_8
; %bb.1:
	s_load_dwordx2 s[0:1], s[4:5], 0x10
	s_add_u32 s6, s12, 8
	s_addc_u32 s7, s13, 0
	v_mov_b32_e32 v1, 0
	v_mov_b32_e32 v2, 0
	s_waitcnt lgkmcnt(0)
	s_add_u32 s14, s0, 8
	s_addc_u32 s15, s1, 0
	s_mov_b64 s[16:17], 1
.LBB0_2:                                ; =>This Inner Loop Header: Depth=1
	s_load_dwordx2 s[18:19], s[14:15], 0x0
                                        ; implicit-def: $vgpr7_vgpr8
	s_waitcnt lgkmcnt(0)
	v_or_b32_e32 v4, s19, v6
	v_cmp_ne_u64_e32 vcc, 0, v[3:4]
	s_and_saveexec_b64 s[0:1], vcc
	s_xor_b64 s[20:21], exec, s[0:1]
	s_cbranch_execz .LBB0_4
; %bb.3:                                ;   in Loop: Header=BB0_2 Depth=1
	v_cvt_f32_u32_e32 v4, s18
	v_cvt_f32_u32_e32 v7, s19
	s_sub_u32 s0, 0, s18
	s_subb_u32 s1, 0, s19
	v_mac_f32_e32 v4, 0x4f800000, v7
	v_rcp_f32_e32 v4, v4
	v_mul_f32_e32 v4, 0x5f7ffffc, v4
	v_mul_f32_e32 v7, 0x2f800000, v4
	v_trunc_f32_e32 v7, v7
	v_mac_f32_e32 v4, 0xcf800000, v7
	v_cvt_u32_f32_e32 v7, v7
	v_cvt_u32_f32_e32 v4, v4
	v_mul_lo_u32 v8, s0, v7
	v_mul_hi_u32 v10, s0, v4
	v_mul_lo_u32 v12, s1, v4
	v_mul_lo_u32 v11, s0, v4
	v_add_u32_e32 v8, v10, v8
	v_add_u32_e32 v8, v8, v12
	v_mul_hi_u32 v10, v4, v11
	v_mul_lo_u32 v12, v4, v8
	v_mul_hi_u32 v14, v4, v8
	v_mul_hi_u32 v13, v7, v11
	v_mul_lo_u32 v11, v7, v11
	v_mul_hi_u32 v15, v7, v8
	v_add_co_u32_e32 v10, vcc, v10, v12
	v_addc_co_u32_e32 v12, vcc, 0, v14, vcc
	v_mul_lo_u32 v8, v7, v8
	v_add_co_u32_e32 v10, vcc, v10, v11
	v_addc_co_u32_e32 v10, vcc, v12, v13, vcc
	v_addc_co_u32_e32 v11, vcc, 0, v15, vcc
	v_add_co_u32_e32 v8, vcc, v10, v8
	v_addc_co_u32_e32 v10, vcc, 0, v11, vcc
	v_add_co_u32_e32 v4, vcc, v4, v8
	v_addc_co_u32_e32 v7, vcc, v7, v10, vcc
	v_mul_lo_u32 v8, s0, v7
	v_mul_hi_u32 v10, s0, v4
	v_mul_lo_u32 v11, s1, v4
	v_mul_lo_u32 v12, s0, v4
	v_add_u32_e32 v8, v10, v8
	v_add_u32_e32 v8, v8, v11
	v_mul_lo_u32 v13, v4, v8
	v_mul_hi_u32 v14, v4, v12
	v_mul_hi_u32 v15, v4, v8
	;; [unrolled: 1-line block ×3, first 2 shown]
	v_mul_lo_u32 v12, v7, v12
	v_mul_hi_u32 v10, v7, v8
	v_add_co_u32_e32 v13, vcc, v14, v13
	v_addc_co_u32_e32 v14, vcc, 0, v15, vcc
	v_mul_lo_u32 v8, v7, v8
	v_add_co_u32_e32 v12, vcc, v13, v12
	v_addc_co_u32_e32 v11, vcc, v14, v11, vcc
	v_addc_co_u32_e32 v10, vcc, 0, v10, vcc
	v_add_co_u32_e32 v8, vcc, v11, v8
	v_addc_co_u32_e32 v10, vcc, 0, v10, vcc
	v_add_co_u32_e32 v4, vcc, v4, v8
	v_addc_co_u32_e32 v10, vcc, v7, v10, vcc
	v_mad_u64_u32 v[7:8], s[0:1], v5, v10, 0
	v_mul_hi_u32 v11, v5, v4
	v_add_co_u32_e32 v12, vcc, v11, v7
	v_addc_co_u32_e32 v13, vcc, 0, v8, vcc
	v_mad_u64_u32 v[7:8], s[0:1], v6, v4, 0
	v_mad_u64_u32 v[10:11], s[0:1], v6, v10, 0
	v_add_co_u32_e32 v4, vcc, v12, v7
	v_addc_co_u32_e32 v4, vcc, v13, v8, vcc
	v_addc_co_u32_e32 v7, vcc, 0, v11, vcc
	v_add_co_u32_e32 v4, vcc, v4, v10
	v_addc_co_u32_e32 v10, vcc, 0, v7, vcc
	v_mul_lo_u32 v11, s19, v4
	v_mul_lo_u32 v12, s18, v10
	v_mad_u64_u32 v[7:8], s[0:1], s18, v4, 0
	v_add3_u32 v8, v8, v12, v11
	v_sub_u32_e32 v11, v6, v8
	v_mov_b32_e32 v12, s19
	v_sub_co_u32_e32 v7, vcc, v5, v7
	v_subb_co_u32_e64 v11, s[0:1], v11, v12, vcc
	v_subrev_co_u32_e64 v12, s[0:1], s18, v7
	v_subbrev_co_u32_e64 v11, s[0:1], 0, v11, s[0:1]
	v_cmp_le_u32_e64 s[0:1], s19, v11
	v_cndmask_b32_e64 v13, 0, -1, s[0:1]
	v_cmp_le_u32_e64 s[0:1], s18, v12
	v_cndmask_b32_e64 v12, 0, -1, s[0:1]
	v_cmp_eq_u32_e64 s[0:1], s19, v11
	v_cndmask_b32_e64 v11, v13, v12, s[0:1]
	v_add_co_u32_e64 v12, s[0:1], 2, v4
	v_addc_co_u32_e64 v13, s[0:1], 0, v10, s[0:1]
	v_add_co_u32_e64 v14, s[0:1], 1, v4
	v_addc_co_u32_e64 v15, s[0:1], 0, v10, s[0:1]
	v_subb_co_u32_e32 v8, vcc, v6, v8, vcc
	v_cmp_ne_u32_e64 s[0:1], 0, v11
	v_cmp_le_u32_e32 vcc, s19, v8
	v_cndmask_b32_e64 v11, v15, v13, s[0:1]
	v_cndmask_b32_e64 v13, 0, -1, vcc
	v_cmp_le_u32_e32 vcc, s18, v7
	v_cndmask_b32_e64 v7, 0, -1, vcc
	v_cmp_eq_u32_e32 vcc, s19, v8
	v_cndmask_b32_e32 v7, v13, v7, vcc
	v_cmp_ne_u32_e32 vcc, 0, v7
	v_cndmask_b32_e64 v7, v14, v12, s[0:1]
	v_cndmask_b32_e32 v8, v10, v11, vcc
	v_cndmask_b32_e32 v7, v4, v7, vcc
.LBB0_4:                                ;   in Loop: Header=BB0_2 Depth=1
	s_andn2_saveexec_b64 s[0:1], s[20:21]
	s_cbranch_execz .LBB0_6
; %bb.5:                                ;   in Loop: Header=BB0_2 Depth=1
	v_cvt_f32_u32_e32 v4, s18
	s_sub_i32 s20, 0, s18
	v_rcp_iflag_f32_e32 v4, v4
	v_mul_f32_e32 v4, 0x4f7ffffe, v4
	v_cvt_u32_f32_e32 v4, v4
	v_mul_lo_u32 v7, s20, v4
	v_mul_hi_u32 v7, v4, v7
	v_add_u32_e32 v4, v4, v7
	v_mul_hi_u32 v4, v5, v4
	v_mul_lo_u32 v7, v4, s18
	v_add_u32_e32 v8, 1, v4
	v_sub_u32_e32 v7, v5, v7
	v_subrev_u32_e32 v10, s18, v7
	v_cmp_le_u32_e32 vcc, s18, v7
	v_cndmask_b32_e32 v7, v7, v10, vcc
	v_cndmask_b32_e32 v4, v4, v8, vcc
	v_add_u32_e32 v8, 1, v4
	v_cmp_le_u32_e32 vcc, s18, v7
	v_cndmask_b32_e32 v7, v4, v8, vcc
	v_mov_b32_e32 v8, v3
.LBB0_6:                                ;   in Loop: Header=BB0_2 Depth=1
	s_or_b64 exec, exec, s[0:1]
	v_mul_lo_u32 v4, v8, s18
	v_mul_lo_u32 v12, v7, s19
	v_mad_u64_u32 v[10:11], s[0:1], v7, s18, 0
	s_load_dwordx2 s[0:1], s[6:7], 0x0
	s_add_u32 s16, s16, 1
	v_add3_u32 v4, v11, v12, v4
	v_sub_co_u32_e32 v5, vcc, v5, v10
	v_subb_co_u32_e32 v4, vcc, v6, v4, vcc
	s_waitcnt lgkmcnt(0)
	v_mul_lo_u32 v4, s0, v4
	v_mul_lo_u32 v6, s1, v5
	v_mad_u64_u32 v[1:2], s[0:1], s0, v5, v[1:2]
	s_addc_u32 s17, s17, 0
	s_add_u32 s6, s6, 8
	v_add3_u32 v2, v6, v2, v4
	v_mov_b32_e32 v4, s10
	v_mov_b32_e32 v5, s11
	s_addc_u32 s7, s7, 0
	v_cmp_ge_u64_e32 vcc, s[16:17], v[4:5]
	s_add_u32 s14, s14, 8
	s_addc_u32 s15, s15, 0
	s_cbranch_vccnz .LBB0_9
; %bb.7:                                ;   in Loop: Header=BB0_2 Depth=1
	v_mov_b32_e32 v5, v7
	v_mov_b32_e32 v6, v8
	s_branch .LBB0_2
.LBB0_8:
	v_mov_b32_e32 v8, v6
	v_mov_b32_e32 v7, v5
.LBB0_9:
	s_lshl_b64 s[0:1], s[10:11], 3
	s_add_u32 s0, s12, s0
	s_addc_u32 s1, s13, s1
	s_load_dwordx2 s[6:7], s[0:1], 0x0
	s_load_dwordx2 s[10:11], s[4:5], 0x20
	v_and_b32_e32 v5, 1, v9
	v_mov_b32_e32 v6, 0x781
	v_cmp_eq_u32_e32 vcc, 1, v5
	s_waitcnt lgkmcnt(0)
	v_mul_lo_u32 v3, s6, v8
	v_mul_lo_u32 v4, s7, v7
	v_mad_u64_u32 v[1:2], s[0:1], s6, v7, v[1:2]
	s_mov_b32 s0, 0x2222223
	v_cndmask_b32_e32 v16, 0, v6, vcc
	v_add3_u32 v2, v4, v2, v3
	v_mul_hi_u32 v3, v0, s0
	v_cmp_gt_u64_e64 s[0:1], s[10:11], v[7:8]
	v_mov_b32_e32 v5, 0
	v_lshlrev_b32_e32 v25, 2, v16
	v_mul_u32_u24_e32 v3, 0x78, v3
	v_sub_u32_e32 v4, v0, v3
	v_lshlrev_b64 v[2:3], 2, v[1:2]
	v_mov_b32_e32 v0, v4
	s_and_saveexec_b64 s[4:5], s[0:1]
	s_cbranch_execz .LBB0_13
; %bb.10:
	v_mov_b32_e32 v0, s3
	v_add_co_u32_e32 v1, vcc, s2, v2
	v_lshlrev_b64 v[6:7], 2, v[4:5]
	v_addc_co_u32_e32 v0, vcc, v0, v3, vcc
	v_add_co_u32_e32 v6, vcc, v1, v6
	v_addc_co_u32_e32 v7, vcc, v0, v7, vcc
	s_movk_i32 s6, 0x1000
	v_add_co_u32_e32 v8, vcc, s6, v6
	global_load_dword v10, v[6:7], off offset:1440
	global_load_dword v11, v[6:7], off offset:1920
	;; [unrolled: 1-line block ×5, first 2 shown]
	global_load_dword v15, v[6:7], off
	global_load_dword v17, v[6:7], off offset:960
	global_load_dword v18, v[6:7], off offset:480
	v_addc_co_u32_e32 v9, vcc, 0, v7, vcc
	global_load_dword v19, v[6:7], off offset:3840
	global_load_dword v20, v[8:9], off offset:224
	;; [unrolled: 1-line block ×8, first 2 shown]
	v_lshlrev_b32_e32 v6, 2, v4
	v_add3_u32 v7, 0, v25, v6
	v_add_u32_e32 v6, 0x200, v7
	s_movk_i32 s6, 0x77
	v_add_u32_e32 v8, 0x600, v7
	v_add_u32_e32 v9, 0xa00, v7
	;; [unrolled: 1-line block ×6, first 2 shown]
	v_cmp_eq_u32_e32 vcc, s6, v4
	s_waitcnt vmcnt(9)
	ds_write2_b32 v6, v17, v10 offset0:112 offset1:232
	ds_write2_b32 v8, v11, v12 offset0:96 offset1:216
	;; [unrolled: 1-line block ×3, first 2 shown]
	s_waitcnt vmcnt(8)
	ds_write2_b32 v7, v15, v18 offset1:120
	s_waitcnt vmcnt(6)
	ds_write2_b32 v28, v19, v20 offset0:64 offset1:184
	s_waitcnt vmcnt(4)
	ds_write2_b32 v29, v21, v22 offset0:48 offset1:168
	;; [unrolled: 2-line block ×4, first 2 shown]
	v_mov_b32_e32 v6, v5
	v_mov_b32_e32 v5, v4
	s_and_saveexec_b64 s[6:7], vcc
	s_cbranch_execz .LBB0_12
; %bb.11:
	v_add_co_u32_e32 v4, vcc, 0x1000, v1
	v_addc_co_u32_e32 v5, vcc, 0, v0, vcc
	global_load_dword v0, v[4:5], off offset:3584
	v_mov_b32_e32 v5, 0x77
	v_mov_b32_e32 v6, 0
	;; [unrolled: 1-line block ×3, first 2 shown]
	s_waitcnt vmcnt(0)
	ds_write_b32 v7, v0 offset:7204
.LBB0_12:
	s_or_b64 exec, exec, s[6:7]
	v_mov_b32_e32 v0, v4
	v_mov_b32_e32 v4, v5
	;; [unrolled: 1-line block ×3, first 2 shown]
.LBB0_13:
	s_or_b64 exec, exec, s[4:5]
	v_lshl_add_u32 v24, v16, 2, 0
	v_lshlrev_b32_e32 v1, 2, v0
	v_add_u32_e32 v26, v24, v1
	s_waitcnt lgkmcnt(0)
	s_barrier
	v_sub_u32_e32 v8, v24, v1
	ds_read_u16 v1, v26
	ds_read_u16 v6, v8 offset:7680
	s_add_u32 s6, s8, 0x1dd8
	v_lshlrev_b64 v[4:5], 2, v[4:5]
	s_addc_u32 s7, s9, 0
	v_cmp_ne_u32_e32 vcc, 0, v0
	s_waitcnt lgkmcnt(0)
	v_add_f16_e32 v9, v6, v1
	v_sub_f16_e32 v10, v1, v6
	s_and_saveexec_b64 s[4:5], vcc
	s_xor_b64 s[4:5], exec, s[4:5]
	s_cbranch_execz .LBB0_15
; %bb.14:
	v_mov_b32_e32 v7, s7
	v_add_co_u32_e32 v9, vcc, s6, v4
	v_addc_co_u32_e32 v10, vcc, v7, v5, vcc
	global_load_dword v7, v[9:10], off
	ds_read_u16 v9, v8 offset:7682
	ds_read_u16 v10, v26 offset:2
	v_add_f16_e32 v11, v6, v1
	v_sub_f16_e32 v1, v1, v6
	s_waitcnt lgkmcnt(0)
	v_add_f16_e32 v6, v9, v10
	v_sub_f16_e32 v9, v10, v9
	s_waitcnt vmcnt(0)
	v_lshrrev_b32_e32 v10, 16, v7
	v_fma_f16 v12, v1, v10, v11
	v_fma_f16 v13, v6, v10, v9
	v_fma_f16 v11, -v1, v10, v11
	v_fma_f16 v14, v6, v10, -v9
	v_fma_f16 v9, -v7, v6, v12
	v_fma_f16 v10, v1, v7, v13
	v_fma_f16 v6, v7, v6, v11
	;; [unrolled: 1-line block ×3, first 2 shown]
	v_pack_b32_f16 v1, v6, v1
	ds_write_b32 v8, v1 offset:7680
.LBB0_15:
	s_andn2_saveexec_b64 s[4:5], s[4:5]
	s_cbranch_execz .LBB0_17
; %bb.16:
	ds_read_b32 v1, v24 offset:3840
	s_mov_b32 s10, 0xc0004000
	s_waitcnt lgkmcnt(0)
	v_pk_mul_f16 v1, v1, s10
	ds_write_b32 v24, v1 offset:3840
.LBB0_17:
	s_or_b64 exec, exec, s[4:5]
	v_mov_b32_e32 v1, 0
	v_lshlrev_b64 v[6:7], 2, v[0:1]
	v_mov_b32_e32 v1, s7
	v_add_co_u32_e32 v11, vcc, s6, v6
	v_addc_co_u32_e32 v12, vcc, v1, v7, vcc
	global_load_dword v1, v[11:12], off offset:480
	global_load_dword v13, v[11:12], off offset:960
	;; [unrolled: 1-line block ×4, first 2 shown]
	s_mov_b32 s6, 0x5040100
	v_perm_b32 v9, v10, v9, s6
	ds_write_b32 v26, v9
	ds_read_b32 v9, v26 offset:480
	ds_read_b32 v10, v8 offset:7200
	global_load_dword v17, v[11:12], off offset:2400
	global_load_dword v18, v[11:12], off offset:2880
	;; [unrolled: 1-line block ×3, first 2 shown]
	s_movk_i32 s5, 0x3b9c
	s_movk_i32 s4, 0x38b4
	s_mov_b32 s11, 0xbb9c
	s_waitcnt lgkmcnt(0)
	v_add_f16_e32 v11, v9, v10
	v_add_f16_sdwa v12, v10, v9 dst_sel:DWORD dst_unused:UNUSED_PAD src0_sel:WORD_1 src1_sel:WORD_1
	v_sub_f16_e32 v20, v9, v10
	v_sub_f16_sdwa v9, v9, v10 dst_sel:DWORD dst_unused:UNUSED_PAD src0_sel:WORD_1 src1_sel:WORD_1
	s_movk_i32 s10, 0x34f2
	s_mov_b32 s7, 0xb8b4
	s_movk_i32 s12, 0x3a79
	s_waitcnt vmcnt(6)
	v_lshrrev_b32_e32 v10, 16, v1
	v_fma_f16 v21, v20, v10, v11
	v_fma_f16 v22, v12, v10, v9
	v_fma_f16 v11, -v20, v10, v11
	v_fma_f16 v9, v12, v10, -v9
	v_fma_f16 v10, -v1, v12, v21
	v_fma_f16 v21, v20, v1, v22
	v_fma_f16 v11, v1, v12, v11
	v_fma_f16 v1, v20, v1, v9
	v_pack_b32_f16 v9, v10, v21
	v_pack_b32_f16 v1, v11, v1
	ds_write_b32 v26, v9 offset:480
	ds_write_b32 v8, v1 offset:7200
	ds_read_b32 v1, v26 offset:960
	ds_read_b32 v9, v8 offset:6720
	s_waitcnt vmcnt(5)
	v_lshrrev_b32_e32 v10, 16, v13
	s_waitcnt lgkmcnt(0)
	v_add_f16_e32 v11, v1, v9
	v_add_f16_sdwa v12, v9, v1 dst_sel:DWORD dst_unused:UNUSED_PAD src0_sel:WORD_1 src1_sel:WORD_1
	v_sub_f16_e32 v20, v1, v9
	v_sub_f16_sdwa v1, v1, v9 dst_sel:DWORD dst_unused:UNUSED_PAD src0_sel:WORD_1 src1_sel:WORD_1
	v_fma_f16 v9, v20, v10, v11
	v_fma_f16 v21, v12, v10, v1
	v_fma_f16 v11, -v20, v10, v11
	v_fma_f16 v1, v12, v10, -v1
	v_fma_f16 v9, -v13, v12, v9
	v_fma_f16 v10, v20, v13, v21
	v_fma_f16 v11, v13, v12, v11
	v_fma_f16 v1, v20, v13, v1
	v_pack_b32_f16 v9, v9, v10
	v_pack_b32_f16 v1, v11, v1
	ds_write_b32 v26, v9 offset:960
	ds_write_b32 v8, v1 offset:6720
	ds_read_b32 v1, v26 offset:1440
	ds_read_b32 v9, v8 offset:6240
	s_waitcnt vmcnt(4)
	v_lshrrev_b32_e32 v10, 16, v14
	s_waitcnt lgkmcnt(0)
	v_add_f16_e32 v11, v1, v9
	v_add_f16_sdwa v12, v9, v1 dst_sel:DWORD dst_unused:UNUSED_PAD src0_sel:WORD_1 src1_sel:WORD_1
	v_sub_f16_e32 v13, v1, v9
	v_sub_f16_sdwa v1, v1, v9 dst_sel:DWORD dst_unused:UNUSED_PAD src0_sel:WORD_1 src1_sel:WORD_1
	;; [unrolled: 21-line block ×4, first 2 shown]
	v_fma_f16 v9, v13, v10, v11
	v_fma_f16 v14, v12, v10, v1
	v_fma_f16 v11, -v13, v10, v11
	v_fma_f16 v1, v12, v10, -v1
	v_fma_f16 v9, -v17, v12, v9
	v_fma_f16 v10, v13, v17, v14
	v_fma_f16 v11, v17, v12, v11
	;; [unrolled: 1-line block ×3, first 2 shown]
	v_pack_b32_f16 v9, v9, v10
	v_pack_b32_f16 v1, v11, v1
	ds_write_b32 v26, v9 offset:2400
	ds_write_b32 v8, v1 offset:5280
	ds_read_b32 v1, v26 offset:2880
	ds_read_b32 v9, v8 offset:4800
	s_waitcnt vmcnt(1)
	v_lshrrev_b32_e32 v10, 16, v18
	v_lshl_add_u32 v17, v0, 2, 0
	s_waitcnt lgkmcnt(0)
	v_add_f16_e32 v11, v1, v9
	v_add_f16_sdwa v12, v9, v1 dst_sel:DWORD dst_unused:UNUSED_PAD src0_sel:WORD_1 src1_sel:WORD_1
	v_sub_f16_e32 v13, v1, v9
	v_sub_f16_sdwa v1, v1, v9 dst_sel:DWORD dst_unused:UNUSED_PAD src0_sel:WORD_1 src1_sel:WORD_1
	v_fma_f16 v9, v13, v10, v11
	v_fma_f16 v14, v12, v10, v1
	v_fma_f16 v11, -v13, v10, v11
	v_fma_f16 v1, v12, v10, -v1
	v_fma_f16 v9, -v18, v12, v9
	v_fma_f16 v10, v13, v18, v14
	v_fma_f16 v11, v18, v12, v11
	;; [unrolled: 1-line block ×3, first 2 shown]
	v_pack_b32_f16 v9, v9, v10
	v_pack_b32_f16 v1, v11, v1
	ds_write_b32 v26, v9 offset:2880
	ds_write_b32 v8, v1 offset:4800
	ds_read_b32 v1, v26 offset:3360
	ds_read_b32 v9, v8 offset:4320
	s_waitcnt vmcnt(0)
	v_lshrrev_b32_e32 v10, 16, v19
	s_waitcnt lgkmcnt(0)
	v_add_f16_e32 v11, v1, v9
	v_add_f16_sdwa v12, v9, v1 dst_sel:DWORD dst_unused:UNUSED_PAD src0_sel:WORD_1 src1_sel:WORD_1
	v_sub_f16_e32 v13, v1, v9
	v_sub_f16_sdwa v1, v1, v9 dst_sel:DWORD dst_unused:UNUSED_PAD src0_sel:WORD_1 src1_sel:WORD_1
	v_fma_f16 v9, v13, v10, v11
	v_fma_f16 v14, v12, v10, v1
	v_fma_f16 v11, -v13, v10, v11
	v_fma_f16 v1, v12, v10, -v1
	v_fma_f16 v9, -v19, v12, v9
	v_fma_f16 v10, v13, v19, v14
	v_fma_f16 v11, v19, v12, v11
	;; [unrolled: 1-line block ×3, first 2 shown]
	v_pack_b32_f16 v9, v9, v10
	v_pack_b32_f16 v1, v11, v1
	ds_write_b32 v26, v9 offset:3360
	ds_write_b32 v8, v1 offset:4320
	v_add_u32_e32 v1, v17, v25
	v_add_u32_e32 v8, 0x400, v1
	;; [unrolled: 1-line block ×5, first 2 shown]
	s_waitcnt lgkmcnt(0)
	s_barrier
	s_barrier
	ds_read2_b32 v[8:9], v8 offset0:56 offset1:128
	ds_read2_b32 v[10:11], v10 offset0:56 offset1:128
	;; [unrolled: 1-line block ×4, first 2 shown]
	v_add_u32_e32 v18, 0x600, v1
	v_add_u32_e32 v27, 0xc00, v1
	;; [unrolled: 1-line block ×3, first 2 shown]
	s_waitcnt lgkmcnt(1)
	v_sub_f16_e32 v19, v13, v11
	s_waitcnt lgkmcnt(0)
	v_sub_f16_e32 v20, v9, v15
	v_add_f16_e32 v31, v20, v19
	v_add_u32_e32 v20, 0x1200, v1
	ds_read2_b32 v[18:19], v18 offset0:120 offset1:192
	ds_read2_b32 v[20:21], v20 offset0:120 offset1:192
	ds_read2_b32 v[22:23], v22 offset0:120 offset1:192
	ds_read2_b32 v[27:28], v27 offset0:120 offset1:192
	v_sub_f16_sdwa v29, v9, v15 dst_sel:DWORD dst_unused:UNUSED_PAD src0_sel:WORD_1 src1_sel:WORD_1
	v_sub_f16_sdwa v30, v13, v11 dst_sel:DWORD dst_unused:UNUSED_PAD src0_sel:WORD_1 src1_sel:WORD_1
	v_add_f16_e32 v32, v29, v30
	s_waitcnt lgkmcnt(1)
	v_sub_f16_e32 v29, v23, v21
	s_waitcnt lgkmcnt(0)
	v_sub_f16_e32 v30, v19, v28
	v_add_f16_e32 v33, v30, v29
	v_sub_f16_sdwa v29, v19, v28 dst_sel:DWORD dst_unused:UNUSED_PAD src0_sel:WORD_1 src1_sel:WORD_1
	v_sub_f16_sdwa v30, v23, v21 dst_sel:DWORD dst_unused:UNUSED_PAD src0_sel:WORD_1 src1_sel:WORD_1
	v_add_f16_e32 v34, v29, v30
	ds_read2_b32 v[29:30], v1 offset0:120 offset1:192
	v_add_f16_e32 v35, v28, v21
	v_sub_f16_sdwa v36, v19, v23 dst_sel:DWORD dst_unused:UNUSED_PAD src0_sel:WORD_1 src1_sel:WORD_1
	v_add_f16_sdwa v39, v28, v21 dst_sel:DWORD dst_unused:UNUSED_PAD src0_sel:WORD_1 src1_sel:WORD_1
	ds_read_b32 v45, v26
	ds_read_b32 v46, v1 offset:7392
	s_waitcnt lgkmcnt(2)
	v_fma_f16 v35, v35, -0.5, v30
	v_lshrrev_b32_e32 v40, 16, v30
	v_fma_f16 v37, v36, s5, v35
	v_sub_f16_sdwa v38, v28, v21 dst_sel:DWORD dst_unused:UNUSED_PAD src0_sel:WORD_1 src1_sel:WORD_1
	v_fma_f16 v39, v39, -0.5, v40
	v_sub_f16_e32 v41, v19, v23
	v_fma_f16 v37, v38, s4, v37
	v_fma_f16 v42, v41, s11, v39
	v_sub_f16_e32 v43, v28, v21
	v_fma_f16 v37, v33, s10, v37
	v_fma_f16 v42, v43, s7, v42
	;; [unrolled: 1-line block ×3, first 2 shown]
	v_mul_f16_e32 v44, 0x3a79, v37
	v_mul_f16_e32 v37, 0xb8b4, v37
	v_fma_f16 v44, v42, s4, v44
	v_fma_f16 v37, v42, s12, v37
	v_add_f16_e32 v42, v15, v11
	v_add_f16_sdwa v50, v15, v11 dst_sel:DWORD dst_unused:UNUSED_PAD src0_sel:WORD_1 src1_sel:WORD_1
	s_waitcnt lgkmcnt(1)
	v_lshrrev_b32_e32 v51, 16, v45
	v_fma_f16 v42, v42, -0.5, v45
	v_sub_f16_sdwa v47, v9, v13 dst_sel:DWORD dst_unused:UNUSED_PAD src0_sel:WORD_1 src1_sel:WORD_1
	v_fma_f16 v50, v50, -0.5, v51
	v_sub_f16_e32 v52, v9, v13
	v_fma_f16 v48, v47, s5, v42
	v_sub_f16_sdwa v49, v15, v11 dst_sel:DWORD dst_unused:UNUSED_PAD src0_sel:WORD_1 src1_sel:WORD_1
	v_fma_f16 v53, v52, s11, v50
	v_sub_f16_e32 v54, v15, v11
	v_fma_f16 v48, v49, s4, v48
	v_fma_f16 v53, v54, s7, v53
	v_fma_f16 v48, v31, s10, v48
	v_fma_f16 v53, v32, s10, v53
	v_add_f16_e32 v55, v48, v44
	v_add_f16_e32 v56, v53, v37
	v_pack_b32_f16 v55, v55, v56
	v_pk_add_f16 v56, v45, v9
	v_pk_add_f16 v57, v30, v19
	;; [unrolled: 1-line block ×6, first 2 shown]
	v_mad_u32_u24 v17, v0, 36, v17
	v_pk_add_f16 v56, v56, v13
	v_pk_add_f16 v57, v57, v23
	v_add_u32_e32 v58, v17, v25
	v_pk_add_f16 v59, v56, v57
	s_waitcnt lgkmcnt(0)
	s_barrier
	ds_write2_b32 v58, v59, v55 offset1:1
	v_add_f16_e32 v55, v9, v13
	v_fma_f16 v45, v55, -0.5, v45
	v_sub_f16_e32 v55, v11, v13
	v_sub_f16_e32 v59, v15, v9
	v_add_f16_e32 v55, v59, v55
	v_fma_f16 v59, v49, s11, v45
	v_fma_f16 v45, v49, s5, v45
	;; [unrolled: 1-line block ×6, first 2 shown]
	v_add_f16_sdwa v55, v9, v13 dst_sel:DWORD dst_unused:UNUSED_PAD src0_sel:WORD_1 src1_sel:WORD_1
	v_fma_f16 v51, v55, -0.5, v51
	v_sub_f16_sdwa v9, v15, v9 dst_sel:DWORD dst_unused:UNUSED_PAD src0_sel:WORD_1 src1_sel:WORD_1
	v_sub_f16_sdwa v11, v11, v13 dst_sel:DWORD dst_unused:UNUSED_PAD src0_sel:WORD_1 src1_sel:WORD_1
	v_add_f16_e32 v9, v9, v11
	v_fma_f16 v11, v54, s5, v51
	v_fma_f16 v13, v54, s11, v51
	;; [unrolled: 1-line block ×6, first 2 shown]
	v_sub_f16_e32 v13, v21, v23
	v_sub_f16_e32 v15, v28, v19
	v_add_f16_e32 v13, v15, v13
	v_add_f16_e32 v15, v19, v23
	v_fma_f16 v15, v15, -0.5, v30
	v_fma_f16 v30, v38, s11, v15
	v_fma_f16 v15, v38, s5, v15
	;; [unrolled: 1-line block ×6, first 2 shown]
	v_add_f16_sdwa v15, v19, v23 dst_sel:DWORD dst_unused:UNUSED_PAD src0_sel:WORD_1 src1_sel:WORD_1
	v_fma_f16 v15, v15, -0.5, v40
	v_sub_f16_sdwa v19, v28, v19 dst_sel:DWORD dst_unused:UNUSED_PAD src0_sel:WORD_1 src1_sel:WORD_1
	v_sub_f16_sdwa v21, v21, v23 dst_sel:DWORD dst_unused:UNUSED_PAD src0_sel:WORD_1 src1_sel:WORD_1
	v_add_f16_e32 v19, v19, v21
	v_fma_f16 v21, v43, s5, v15
	v_fma_f16 v21, v41, s7, v21
	;; [unrolled: 1-line block ×5, first 2 shown]
	v_mul_f16_e32 v23, 0xbb9c, v30
	v_fma_f16 v15, v19, s10, v15
	v_mul_f16_e32 v19, 0x3b9c, v21
	v_fma_f16 v21, v21, s10, v23
	v_mul_f16_e32 v23, 0x34f2, v13
	v_fma_f16 v23, v15, s5, -v23
	v_mul_f16_e32 v15, 0x34f2, v15
	v_fma_f16 v13, v13, s11, -v15
	v_fma_f16 v19, v30, s10, v19
	v_add_f16_e32 v15, v45, v23
	v_add_f16_e32 v28, v9, v13
	v_pack_b32_f16 v15, v15, v28
	v_add_f16_e32 v28, v59, v19
	v_add_f16_e32 v30, v11, v21
	v_pack_b32_f16 v28, v28, v30
	ds_write2_b32 v58, v28, v15 offset0:2 offset1:3
	v_fma_f16 v15, v47, s11, v42
	v_fma_f16 v15, v49, s7, v15
	v_fma_f16 v30, v36, s11, v35
	v_fma_f16 v15, v31, s10, v15
	v_fma_f16 v28, v52, s5, v50
	v_fma_f16 v30, v38, s7, v30
	v_fma_f16 v31, v41, s5, v39
	v_fma_f16 v28, v54, s4, v28
	v_fma_f16 v30, v33, s10, v30
	v_fma_f16 v31, v43, s4, v31
	v_fma_f16 v28, v32, s10, v28
	v_fma_f16 v31, v34, s10, v31
	v_mul_f16_e32 v32, 0x3a79, v30
	v_fma_f16 v32, v31, s4, -v32
	v_mul_f16_e32 v31, 0x3a79, v31
	v_fma_f16 v30, v30, s7, -v31
	v_add_f16_e32 v33, v15, v32
	v_add_f16_e32 v34, v28, v30
	v_pk_add_f16 v31, v56, v57 neg_lo:[0,1] neg_hi:[0,1]
	v_pack_b32_f16 v33, v33, v34
	ds_write2_b32 v58, v33, v31 offset0:4 offset1:5
	v_sub_f16_e32 v31, v48, v44
	v_sub_f16_e32 v19, v59, v19
	;; [unrolled: 1-line block ×4, first 2 shown]
	v_pack_b32_f16 v21, v31, v33
	v_pack_b32_f16 v11, v19, v11
	ds_write2_b32 v58, v21, v11 offset0:6 offset1:7
	v_sub_f16_e32 v11, v45, v23
	v_sub_f16_e32 v15, v15, v32
	;; [unrolled: 1-line block ×4, first 2 shown]
	v_pack_b32_f16 v13, v15, v13
	v_pack_b32_f16 v9, v11, v9
	ds_write2_b32 v58, v9, v13 offset0:8 offset1:9
	v_pk_add_f16 v9, v29, v18
	v_pk_add_f16 v9, v9, v27
	v_add_f16_e32 v11, v27, v20
	v_sub_f16_sdwa v13, v27, v20 dst_sel:DWORD dst_unused:UNUSED_PAD src0_sel:WORD_1 src1_sel:WORD_1
	v_sub_f16_e32 v19, v18, v27
	v_sub_f16_e32 v21, v27, v18
	v_add_f16_sdwa v23, v27, v20 dst_sel:DWORD dst_unused:UNUSED_PAD src0_sel:WORD_1 src1_sel:WORD_1
	v_sub_f16_e32 v28, v27, v20
	v_sub_f16_sdwa v30, v18, v27 dst_sel:DWORD dst_unused:UNUSED_PAD src0_sel:WORD_1 src1_sel:WORD_1
	v_sub_f16_sdwa v27, v27, v18 dst_sel:DWORD dst_unused:UNUSED_PAD src0_sel:WORD_1 src1_sel:WORD_1
	;; [unrolled: 1-line block ×3, first 2 shown]
	v_add_f16_e32 v32, v18, v22
	v_sub_f16_e32 v33, v18, v22
	v_add_f16_sdwa v34, v18, v22 dst_sel:DWORD dst_unused:UNUSED_PAD src0_sel:WORD_1 src1_sel:WORD_1
	v_pk_add_f16 v9, v9, v20
	v_sub_f16_e32 v18, v22, v20
	v_fma_f16 v11, v11, -0.5, v29
	v_pk_add_f16 v15, v9, v22
	v_add_f16_e32 v9, v19, v18
	v_fma_f16 v18, v31, s5, v11
	v_fma_f16 v11, v31, s11, v11
	;; [unrolled: 1-line block ×4, first 2 shown]
	v_fma_f16 v11, v32, -0.5, v29
	v_sub_f16_e32 v35, v20, v22
	v_sub_f16_sdwa v36, v22, v20 dst_sel:DWORD dst_unused:UNUSED_PAD src0_sel:WORD_1 src1_sel:WORD_1
	v_sub_f16_sdwa v37, v20, v22 dst_sel:DWORD dst_unused:UNUSED_PAD src0_sel:WORD_1 src1_sel:WORD_1
	v_fma_f16 v18, v13, s4, v18
	v_fma_f16 v20, v13, s11, v11
	v_fma_f16 v11, v13, s5, v11
	v_fma_f16 v18, v9, s10, v18
	v_add_f16_e32 v9, v21, v35
	v_fma_f16 v13, v31, s4, v20
	v_fma_f16 v11, v31, s7, v11
	;; [unrolled: 1-line block ×4, first 2 shown]
	v_lshrrev_b32_e32 v9, 16, v29
	v_fma_f16 v22, v23, -0.5, v9
	v_fma_f16 v21, v33, s11, v22
	v_fma_f16 v22, v33, s5, v22
	v_fma_f16 v9, v34, -0.5, v9
	v_add_f16_e32 v11, v30, v36
	v_fma_f16 v21, v28, s7, v21
	v_fma_f16 v22, v28, s4, v22
	;; [unrolled: 1-line block ×6, first 2 shown]
	v_add_f16_e32 v11, v27, v37
	v_fma_f16 v23, v33, s7, v23
	v_fma_f16 v9, v33, s4, v9
	;; [unrolled: 1-line block ×4, first 2 shown]
	v_sub_f16_e32 v9, v46, v12
	v_sub_f16_e32 v11, v14, v10
	v_add_f16_e32 v9, v11, v9
	v_add_f16_e32 v11, v10, v12
	v_fma_f16 v11, v11, -0.5, v8
	v_sub_f16_sdwa v27, v14, v46 dst_sel:DWORD dst_unused:UNUSED_PAD src0_sel:WORD_1 src1_sel:WORD_1
	v_fma_f16 v29, v27, s5, v11
	v_sub_f16_sdwa v30, v10, v12 dst_sel:DWORD dst_unused:UNUSED_PAD src0_sel:WORD_1 src1_sel:WORD_1
	v_fma_f16 v11, v27, s11, v11
	v_fma_f16 v29, v30, s4, v29
	;; [unrolled: 1-line block ×5, first 2 shown]
	v_sub_f16_e32 v11, v12, v46
	v_sub_f16_e32 v31, v10, v14
	v_add_f16_e32 v11, v31, v11
	v_add_f16_e32 v31, v14, v46
	v_fma_f16 v31, v31, -0.5, v8
	v_fma_f16 v32, v30, s11, v31
	v_fma_f16 v30, v30, s5, v31
	v_fma_f16 v31, v27, s4, v32
	v_fma_f16 v27, v27, s7, v30
	v_fma_f16 v30, v11, s10, v31
	v_fma_f16 v11, v11, s10, v27
	v_pk_add_f16 v27, v8, v14
	v_pk_add_f16 v27, v27, v10
	v_add_f16_sdwa v31, v10, v12 dst_sel:DWORD dst_unused:UNUSED_PAD src0_sel:WORD_1 src1_sel:WORD_1
	v_add_f16_sdwa v35, v14, v46 dst_sel:DWORD dst_unused:UNUSED_PAD src0_sel:WORD_1 src1_sel:WORD_1
	v_lshrrev_b32_e32 v8, 16, v8
	v_sub_f16_e32 v32, v10, v12
	v_sub_f16_sdwa v33, v14, v10 dst_sel:DWORD dst_unused:UNUSED_PAD src0_sel:WORD_1 src1_sel:WORD_1
	v_sub_f16_sdwa v10, v10, v14 dst_sel:DWORD dst_unused:UNUSED_PAD src0_sel:WORD_1 src1_sel:WORD_1
	v_sub_f16_e32 v34, v14, v46
	v_pk_add_f16 v14, v27, v12
	v_sub_f16_sdwa v27, v46, v12 dst_sel:DWORD dst_unused:UNUSED_PAD src0_sel:WORD_1 src1_sel:WORD_1
	v_sub_f16_sdwa v12, v12, v46 dst_sel:DWORD dst_unused:UNUSED_PAD src0_sel:WORD_1 src1_sel:WORD_1
	v_fma_f16 v31, v31, -0.5, v8
	v_fma_f16 v8, v35, -0.5, v8
	v_add_f16_e32 v27, v33, v27
	v_fma_f16 v33, v34, s11, v31
	v_add_f16_e32 v10, v10, v12
	v_fma_f16 v12, v32, s5, v8
	v_fma_f16 v8, v32, s11, v8
	;; [unrolled: 1-line block ×9, first 2 shown]
	v_mul_f16_e32 v10, 0x3a79, v29
	v_fma_f16 v31, v32, s4, v31
	v_fma_f16 v32, v33, s4, v10
	v_mul_f16_e32 v10, 0xb8b4, v29
	v_mul_f16_e32 v29, 0xbb9c, v30
	v_fma_f16 v33, v33, s12, v10
	v_mul_f16_e32 v10, 0x3b9c, v12
	v_fma_f16 v12, v12, s10, v29
	v_mul_f16_e32 v29, 0x34f2, v11
	v_fma_f16 v34, v8, s5, -v29
	v_mul_f16_e32 v8, 0x34f2, v8
	v_fma_f16 v27, v27, s10, v31
	v_fma_f16 v35, v11, s11, -v8
	v_mul_f16_e32 v8, 0x3a79, v9
	v_fma_f16 v36, v27, s4, -v8
	v_mul_f16_e32 v8, 0x3a79, v27
	v_pk_add_f16 v14, v14, v46
	v_fma_f16 v10, v30, s10, v10
	v_fma_f16 v37, v9, s7, -v8
	s_movk_i32 s4, 0x48
	v_add_f16_e32 v27, v28, v12
	v_sub_f16_e32 v28, v28, v12
	v_add_f16_e32 v8, v13, v10
	v_add_f16_e32 v9, v20, v34
	v_sub_f16_e32 v13, v13, v10
	v_sub_f16_e32 v12, v18, v32
	v_add_f16_e32 v10, v19, v36
	v_pk_add_f16 v11, v15, v14 neg_lo:[0,1] neg_hi:[0,1]
	v_cmp_gt_u32_e32 vcc, s4, v0
	v_add_f16_e32 v29, v23, v35
	v_add_f16_e32 v30, v22, v37
	v_sub_f16_e32 v31, v21, v33
	s_and_saveexec_b64 s[4:5], vcc
	s_cbranch_execz .LBB0_19
; %bb.18:
	v_add_f16_e32 v21, v21, v33
	v_add_f16_e32 v18, v18, v32
	v_lshl_add_u32 v16, v16, 2, v17
	v_add_u32_e32 v17, 0x12c0, v16
	v_pk_add_f16 v14, v15, v14
	v_pack_b32_f16 v15, v18, v21
	ds_write2_b32 v17, v14, v15 offset1:1
	v_add_u32_e32 v14, 0x12c8, v16
	v_perm_b32 v15, v29, v9, s6
	v_perm_b32 v17, v27, v8, s6
	ds_write2_b32 v14, v17, v15 offset1:1
	v_add_u32_e32 v14, 0x12d0, v16
	v_perm_b32 v15, v30, v10, s6
	v_sub_f16_e32 v22, v22, v37
	v_sub_f16_e32 v23, v23, v35
	;; [unrolled: 1-line block ×4, first 2 shown]
	ds_write2_b32 v14, v15, v11 offset1:1
	v_add_u32_e32 v14, 0x12d8, v16
	v_perm_b32 v15, v28, v13, s6
	v_perm_b32 v17, v31, v12, s6
	ds_write2_b32 v14, v17, v15 offset1:1
	v_add_u32_e32 v14, 0x12e0, v16
	v_pack_b32_f16 v15, v19, v22
	v_pack_b32_f16 v16, v20, v23
	ds_write2_b32 v14, v16, v15 offset1:1
.LBB0_19:
	s_or_b64 exec, exec, s[4:5]
	v_add_u32_e32 v14, 0x180, v1
	v_add_u32_e32 v16, 0x680, v1
	;; [unrolled: 1-line block ×5, first 2 shown]
	s_waitcnt lgkmcnt(0)
	s_barrier
	ds_read2_b32 v[14:15], v14 offset0:24 offset1:224
	ds_read2_b32 v[16:17], v16 offset0:24 offset1:224
	;; [unrolled: 1-line block ×5, first 2 shown]
	ds_read_b32 v32, v26
	ds_read_b32 v33, v1 offset:6880
	s_movk_i32 s4, 0x50
	v_cmp_gt_u32_e32 vcc, s4, v0
	s_and_saveexec_b64 s[4:5], vcc
	s_cbranch_execz .LBB0_21
; %bb.20:
	v_add_u32_e32 v12, 0xc0, v1
	ds_read2st64_b32 v[8:9], v12 offset0:3 offset1:8
	ds_read2st64_b32 v[10:11], v12 offset0:13 offset1:18
	;; [unrolled: 1-line block ×3, first 2 shown]
	s_waitcnt lgkmcnt(2)
	v_lshrrev_b32_e32 v27, 16, v8
	v_lshrrev_b32_e32 v29, 16, v9
	s_waitcnt lgkmcnt(1)
	v_lshrrev_b32_e32 v30, 16, v10
	s_waitcnt lgkmcnt(0)
	v_lshrrev_b32_e32 v31, 16, v12
	v_lshrrev_b32_e32 v28, 16, v13
.LBB0_21:
	s_or_b64 exec, exec, s[4:5]
	s_movk_i32 s5, 0xcd
	v_mul_lo_u16_sdwa v34, v0, s5 dst_sel:DWORD dst_unused:UNUSED_PAD src0_sel:BYTE_0 src1_sel:DWORD
	v_lshrrev_b16_e32 v50, 11, v34
	v_mul_lo_u16_e32 v34, 10, v50
	v_sub_u16_e32 v51, v0, v34
	v_mov_b32_e32 v52, 5
	v_mul_u32_u24_sdwa v34, v51, v52 dst_sel:DWORD dst_unused:UNUSED_PAD src0_sel:BYTE_0 src1_sel:DWORD
	v_lshlrev_b32_e32 v53, 2, v34
	global_load_dwordx4 v[34:37], v53, s[8:9]
	s_waitcnt lgkmcnt(6)
	v_lshrrev_b32_e32 v42, 16, v15
	s_waitcnt lgkmcnt(5)
	v_lshrrev_b32_e32 v43, 16, v17
	;; [unrolled: 2-line block ×5, first 2 shown]
	v_lshrrev_b32_e32 v47, 16, v16
	v_lshrrev_b32_e32 v48, 16, v18
	;; [unrolled: 1-line block ×4, first 2 shown]
	s_waitcnt lgkmcnt(0)
	v_lshrrev_b32_e32 v41, 16, v33
	v_lshrrev_b32_e32 v38, 16, v32
	s_movk_i32 s7, 0x3aee
	s_mov_b32 s10, 0xbaee
	v_lshrrev_b32_e32 v39, 16, v14
	s_movk_i32 s4, 0xf0
	s_mov_b32 s6, 0xffff
	s_waitcnt vmcnt(0)
	v_mul_f16_sdwa v54, v34, v42 dst_sel:DWORD dst_unused:UNUSED_PAD src0_sel:WORD_1 src1_sel:DWORD
	v_fma_f16 v54, v34, v15, -v54
	v_mul_f16_sdwa v15, v34, v15 dst_sel:DWORD dst_unused:UNUSED_PAD src0_sel:WORD_1 src1_sel:DWORD
	v_fma_f16 v15, v34, v42, v15
	v_mul_f16_sdwa v34, v35, v43 dst_sel:DWORD dst_unused:UNUSED_PAD src0_sel:WORD_1 src1_sel:DWORD
	v_fma_f16 v42, v35, v17, -v34
	v_mul_f16_sdwa v17, v35, v17 dst_sel:DWORD dst_unused:UNUSED_PAD src0_sel:WORD_1 src1_sel:DWORD
	v_mul_f16_sdwa v34, v36, v44 dst_sel:DWORD dst_unused:UNUSED_PAD src0_sel:WORD_1 src1_sel:DWORD
	v_fma_f16 v17, v35, v43, v17
	v_fma_f16 v43, v36, v19, -v34
	v_mul_f16_sdwa v19, v36, v19 dst_sel:DWORD dst_unused:UNUSED_PAD src0_sel:WORD_1 src1_sel:DWORD
	v_mul_f16_sdwa v34, v37, v45 dst_sel:DWORD dst_unused:UNUSED_PAD src0_sel:WORD_1 src1_sel:DWORD
	v_fma_f16 v19, v36, v44, v19
	v_fma_f16 v44, v37, v21, -v34
	global_load_dword v34, v53, s[8:9] offset:16
	v_mul_f16_sdwa v21, v37, v21 dst_sel:DWORD dst_unused:UNUSED_PAD src0_sel:WORD_1 src1_sel:DWORD
	v_fma_f16 v21, v37, v45, v21
	s_waitcnt vmcnt(0)
	v_mul_f16_sdwa v35, v34, v46 dst_sel:DWORD dst_unused:UNUSED_PAD src0_sel:WORD_1 src1_sel:DWORD
	v_fma_f16 v45, v34, v23, -v35
	v_mul_f16_sdwa v23, v34, v23 dst_sel:DWORD dst_unused:UNUSED_PAD src0_sel:WORD_1 src1_sel:DWORD
	v_fma_f16 v23, v34, v46, v23
	v_add_u16_e32 v34, 0x78, v0
	v_mul_lo_u16_sdwa v35, v34, s5 dst_sel:DWORD dst_unused:UNUSED_PAD src0_sel:BYTE_0 src1_sel:DWORD
	v_lshrrev_b16_e32 v46, 11, v35
	v_mul_lo_u16_e32 v35, 10, v46
	v_sub_u16_e32 v53, v34, v35
	v_mul_u32_u24_sdwa v34, v53, v52 dst_sel:DWORD dst_unused:UNUSED_PAD src0_sel:BYTE_0 src1_sel:DWORD
	v_lshlrev_b32_e32 v52, 2, v34
	global_load_dwordx4 v[34:37], v52, s[8:9]
	s_waitcnt vmcnt(0)
	v_mul_f16_sdwa v55, v34, v47 dst_sel:DWORD dst_unused:UNUSED_PAD src0_sel:WORD_1 src1_sel:DWORD
	v_fma_f16 v55, v34, v16, -v55
	v_mul_f16_sdwa v16, v34, v16 dst_sel:DWORD dst_unused:UNUSED_PAD src0_sel:WORD_1 src1_sel:DWORD
	v_fma_f16 v16, v34, v47, v16
	v_mul_f16_sdwa v34, v35, v48 dst_sel:DWORD dst_unused:UNUSED_PAD src0_sel:WORD_1 src1_sel:DWORD
	v_fma_f16 v34, v35, v18, -v34
	v_mul_f16_sdwa v18, v35, v18 dst_sel:DWORD dst_unused:UNUSED_PAD src0_sel:WORD_1 src1_sel:DWORD
	v_fma_f16 v18, v35, v48, v18
	;; [unrolled: 4-line block ×3, first 2 shown]
	v_mul_f16_sdwa v36, v40, v37 dst_sel:DWORD dst_unused:UNUSED_PAD src0_sel:DWORD src1_sel:WORD_1
	v_fma_f16 v36, v22, v37, -v36
	v_mul_f16_sdwa v22, v22, v37 dst_sel:DWORD dst_unused:UNUSED_PAD src0_sel:DWORD src1_sel:WORD_1
	v_fma_f16 v22, v40, v37, v22
	global_load_dword v37, v52, s[8:9] offset:16
	s_waitcnt vmcnt(0)
	s_barrier
	v_mul_f16_sdwa v40, v41, v37 dst_sel:DWORD dst_unused:UNUSED_PAD src0_sel:DWORD src1_sel:WORD_1
	v_fma_f16 v40, v33, v37, -v40
	v_mul_f16_sdwa v33, v33, v37 dst_sel:DWORD dst_unused:UNUSED_PAD src0_sel:DWORD src1_sel:WORD_1
	v_fma_f16 v33, v41, v37, v33
	v_add_f16_e32 v41, v42, v44
	v_add_f16_e32 v37, v32, v42
	v_fma_f16 v32, v41, -0.5, v32
	v_sub_f16_e32 v41, v17, v21
	v_fma_f16 v47, v41, s7, v32
	v_fma_f16 v32, v41, s10, v32
	v_add_f16_e32 v41, v38, v17
	v_add_f16_e32 v41, v41, v21
	;; [unrolled: 1-line block ×3, first 2 shown]
	v_sub_f16_e32 v21, v42, v44
	v_add_f16_e32 v42, v43, v45
	v_add_f16_e32 v37, v37, v44
	v_fma_f16 v42, v42, -0.5, v54
	v_sub_f16_e32 v44, v19, v23
	v_fma_f16 v48, v44, s7, v42
	v_fma_f16 v42, v44, s10, v42
	v_add_f16_e32 v44, v15, v19
	v_add_f16_e32 v19, v19, v23
	v_fma_f16 v15, v19, -0.5, v15
	v_sub_f16_e32 v19, v43, v45
	v_fma_f16 v17, v17, -0.5, v38
	v_add_f16_e32 v44, v44, v23
	v_fma_f16 v23, v19, s10, v15
	v_fma_f16 v38, v21, s10, v17
	;; [unrolled: 1-line block ×3, first 2 shown]
	v_add_f16_e32 v21, v54, v43
	v_mul_f16_e32 v43, 0x3aee, v23
	v_fma_f16 v15, v19, s7, v15
	v_fma_f16 v43, v48, 0.5, v43
	v_mul_f16_e32 v49, -0.5, v42
	v_mul_f16_e32 v48, 0xbaee, v48
	v_fma_f16 v49, v15, s7, v49
	v_fma_f16 v23, v23, 0.5, v48
	v_mul_f16_e32 v15, -0.5, v15
	v_add_f16_e32 v48, v38, v23
	v_fma_f16 v15, v42, s10, v15
	v_sub_f16_e32 v23, v38, v23
	v_add_f16_e32 v38, v34, v36
	v_add_f16_e32 v21, v21, v45
	;; [unrolled: 1-line block ×3, first 2 shown]
	v_sub_f16_e32 v15, v17, v15
	v_add_f16_e32 v17, v14, v34
	v_fma_f16 v14, v38, -0.5, v14
	v_sub_f16_e32 v38, v18, v22
	v_add_f16_e32 v19, v37, v21
	v_add_f16_e32 v45, v47, v43
	v_sub_f16_e32 v21, v37, v21
	v_sub_f16_e32 v37, v47, v43
	v_fma_f16 v43, v38, s7, v14
	v_fma_f16 v14, v38, s10, v14
	v_add_f16_e32 v38, v39, v18
	v_add_f16_e32 v17, v17, v36
	v_add_f16_e32 v38, v38, v22
	v_add_f16_e32 v18, v18, v22
	v_sub_f16_e32 v22, v34, v36
	v_add_f16_e32 v36, v35, v40
	v_fma_f16 v18, v18, -0.5, v39
	v_fma_f16 v36, v36, -0.5, v55
	v_sub_f16_e32 v39, v20, v33
	v_add_f16_e32 v54, v41, v44
	v_sub_f16_e32 v41, v41, v44
	v_fma_f16 v44, v39, s7, v36
	v_fma_f16 v36, v39, s10, v36
	v_add_f16_e32 v39, v16, v20
	v_add_f16_e32 v20, v20, v33
	v_fma_f16 v16, v20, -0.5, v16
	v_sub_f16_e32 v20, v35, v40
	v_add_f16_e32 v39, v39, v33
	v_fma_f16 v33, v20, s10, v16
	v_fma_f16 v34, v22, s10, v18
	;; [unrolled: 1-line block ×3, first 2 shown]
	v_add_f16_e32 v22, v55, v35
	v_mul_f16_e32 v35, 0x3aee, v33
	v_fma_f16 v16, v20, s7, v16
	v_fma_f16 v35, v44, 0.5, v35
	v_mul_f16_e32 v47, -0.5, v36
	v_mul_f16_e32 v44, 0xbaee, v44
	v_fma_f16 v47, v16, s7, v47
	v_fma_f16 v33, v33, 0.5, v44
	v_mul_f16_e32 v16, -0.5, v16
	v_add_f16_e32 v22, v22, v40
	v_add_f16_e32 v44, v34, v33
	v_fma_f16 v16, v36, s10, v16
	v_sub_f16_e32 v33, v34, v33
	v_mov_b32_e32 v34, 2
	v_add_f16_e32 v20, v17, v22
	v_add_f16_e32 v40, v43, v35
	;; [unrolled: 1-line block ×4, first 2 shown]
	v_sub_f16_e32 v17, v17, v22
	v_sub_f16_e32 v22, v43, v35
	;; [unrolled: 1-line block ×4, first 2 shown]
	v_mad_u32_u24 v18, v50, s4, 0
	v_lshlrev_b32_sdwa v38, v34, v51 dst_sel:DWORD dst_unused:UNUSED_PAD src0_sel:DWORD src1_sel:BYTE_0
	v_add_f16_e32 v52, v32, v49
	v_add3_u32 v18, v18, v38, v25
	v_pack_b32_f16 v19, v19, v54
	v_pack_b32_f16 v38, v45, v48
	v_sub_f16_e32 v32, v32, v49
	ds_write2_b32 v18, v19, v38 offset1:10
	v_pack_b32_f16 v19, v52, v42
	v_pack_b32_f16 v21, v21, v41
	ds_write2_b32 v18, v19, v21 offset0:20 offset1:30
	v_pack_b32_f16 v19, v37, v23
	v_pack_b32_f16 v15, v32, v15
	ds_write2_b32 v18, v19, v15 offset0:40 offset1:50
	v_mad_u32_u24 v15, v46, s4, 0
	v_lshlrev_b32_sdwa v18, v34, v53 dst_sel:DWORD dst_unused:UNUSED_PAD src0_sel:DWORD src1_sel:BYTE_0
	v_add_f16_e32 v49, v14, v47
	v_add3_u32 v15, v15, v18, v25
	v_pack_b32_f16 v18, v20, v55
	v_pack_b32_f16 v19, v40, v44
	v_sub_f16_e32 v14, v14, v47
	ds_write2_b32 v15, v18, v19 offset1:10
	v_pack_b32_f16 v18, v49, v36
	v_pack_b32_f16 v17, v17, v35
	ds_write2_b32 v15, v18, v17 offset0:20 offset1:30
	v_pack_b32_f16 v17, v22, v33
	v_pack_b32_f16 v14, v14, v16
	ds_write2_b32 v15, v17, v14 offset0:40 offset1:50
	s_and_saveexec_b64 s[4:5], vcc
	s_cbranch_execz .LBB0_23
; %bb.22:
	v_add_u32_e32 v14, 0xf0, v0
	s_mov_b32 s11, 0xcccd
	v_mul_u32_u24_sdwa v15, v14, s11 dst_sel:DWORD dst_unused:UNUSED_PAD src0_sel:WORD_0 src1_sel:DWORD
	v_lshrrev_b32_e32 v18, 19, v15
	v_mul_lo_u16_e32 v15, 10, v18
	v_sub_u16_e32 v19, v14, v15
	v_mul_u32_u24_e32 v14, 5, v19
	v_lshlrev_b32_e32 v20, 2, v14
	global_load_dwordx4 v[14:17], v20, s[8:9]
	global_load_dword v21, v20, s[8:9] offset:16
	v_mul_lo_u16_e32 v18, 60, v18
	v_lshrrev_b32_e32 v20, 16, v11
	v_lshlrev_b32_e32 v18, 2, v18
	v_lshl_add_u32 v19, v19, 2, 0
	v_add3_u32 v18, v19, v18, v25
	s_waitcnt vmcnt(1)
	v_mul_f16_sdwa v19, v30, v15 dst_sel:DWORD dst_unused:UNUSED_PAD src0_sel:DWORD src1_sel:WORD_1
	v_mul_f16_sdwa v34, v20, v16 dst_sel:DWORD dst_unused:UNUSED_PAD src0_sel:DWORD src1_sel:WORD_1
	s_waitcnt vmcnt(0)
	v_mul_f16_sdwa v35, v28, v21 dst_sel:DWORD dst_unused:UNUSED_PAD src0_sel:DWORD src1_sel:WORD_1
	v_mul_f16_sdwa v36, v11, v16 dst_sel:DWORD dst_unused:UNUSED_PAD src0_sel:DWORD src1_sel:WORD_1
	;; [unrolled: 1-line block ×8, first 2 shown]
	v_fma_f16 v10, v10, v15, -v19
	v_fma_f16 v11, v11, v16, -v34
	;; [unrolled: 1-line block ×3, first 2 shown]
	v_fma_f16 v16, v20, v16, v36
	v_fma_f16 v19, v28, v21, v37
	v_fma_f16 v12, v12, v17, -v22
	v_fma_f16 v15, v30, v15, v23
	v_fma_f16 v17, v31, v17, v32
	v_fma_f16 v9, v9, v14, -v33
	v_fma_f16 v14, v29, v14, v38
	v_add_f16_e32 v22, v11, v13
	v_add_f16_e32 v29, v16, v19
	v_sub_f16_e32 v20, v10, v12
	v_add_f16_e32 v21, v15, v17
	v_sub_f16_e32 v23, v16, v19
	v_sub_f16_e32 v28, v11, v13
	v_add_f16_e32 v30, v27, v15
	v_add_f16_e32 v16, v14, v16
	;; [unrolled: 1-line block ×5, first 2 shown]
	v_fma_f16 v9, v22, -0.5, v9
	v_fma_f16 v14, v29, -0.5, v14
	v_sub_f16_e32 v15, v15, v17
	v_fma_f16 v21, v21, -0.5, v27
	v_add_f16_e32 v17, v30, v17
	v_add_f16_e32 v16, v16, v19
	v_fma_f16 v8, v31, -0.5, v8
	v_add_f16_e32 v10, v10, v12
	v_add_f16_e32 v11, v11, v13
	v_fma_f16 v13, v23, s10, v9
	v_fma_f16 v19, v28, s7, v14
	v_fma_f16 v14, v28, s10, v14
	v_fma_f16 v9, v23, s7, v9
	v_fma_f16 v12, v20, s7, v21
	v_fma_f16 v20, v20, s10, v21
	v_sub_f16_e32 v21, v17, v16
	v_fma_f16 v22, v15, s10, v8
	v_fma_f16 v8, v15, s7, v8
	v_sub_f16_e32 v15, v10, v11
	v_add_f16_e32 v16, v17, v16
	v_add_f16_e32 v10, v10, v11
	v_mul_f16_e32 v11, -0.5, v19
	v_mul_f16_e32 v17, 0xbaee, v9
	v_mul_f16_e32 v27, 0x3aee, v14
	v_mul_f16_e32 v23, -0.5, v13
	v_fma_f16 v11, v13, s10, v11
	v_fma_f16 v13, v14, 0.5, v17
	v_fma_f16 v9, v9, 0.5, v27
	v_pack_b32_f16 v10, v10, v16
	v_pack_b32_f16 v15, v15, v21
	v_fma_f16 v14, v19, s7, v23
	v_sub_f16_e32 v16, v12, v11
	v_sub_f16_e32 v21, v8, v9
	v_add_f16_e32 v11, v12, v11
	v_add_f16_e32 v12, v20, v13
	;; [unrolled: 1-line block ×3, first 2 shown]
	v_sub_f16_e32 v17, v20, v13
	v_sub_f16_e32 v19, v22, v14
	v_add_f16_e32 v13, v22, v14
	v_pack_b32_f16 v8, v8, v12
	v_pack_b32_f16 v9, v13, v11
	;; [unrolled: 1-line block ×4, first 2 shown]
	ds_write2_b32 v18, v10, v8 offset1:10
	ds_write2_b32 v18, v9, v15 offset0:20 offset1:30
	ds_write2_b32 v18, v11, v12 offset0:40 offset1:50
.LBB0_23:
	s_or_b64 exec, exec, s[4:5]
	v_subrev_u32_e32 v8, 60, v0
	v_cmp_gt_u32_e32 vcc, 60, v0
	v_cndmask_b32_e32 v42, v8, v0, vcc
	v_mul_i32_i24_e32 v8, 15, v42
	v_mov_b32_e32 v9, 0
	v_lshlrev_b64 v[10:11], 2, v[8:9]
	v_mov_b32_e32 v8, s9
	v_add_co_u32_e32 v22, vcc, s8, v10
	v_addc_co_u32_e32 v23, vcc, v8, v11, vcc
	s_waitcnt lgkmcnt(0)
	s_barrier
	global_load_dwordx4 v[10:13], v[22:23], off offset:200
	global_load_dwordx4 v[14:17], v[22:23], off offset:216
	;; [unrolled: 1-line block ×3, first 2 shown]
	global_load_dwordx3 v[27:29], v[22:23], off offset:248
	ds_read2_b32 v[22:23], v1 offset0:120 offset1:240
	v_add_u32_e32 v43, 0x400, v1
	v_add_u32_e32 v44, 0x800, v1
	;; [unrolled: 1-line block ×4, first 2 shown]
	s_waitcnt lgkmcnt(0)
	v_lshrrev_b32_e32 v53, 16, v23
	v_add_u32_e32 v47, 0x1400, v1
	v_add_u32_e32 v48, 0x1800, v1
	ds_read_b32 v49, v26
	ds_read_b32 v50, v1 offset:7200
	ds_read2_b32 v[30:31], v43 offset0:104 offset1:224
	ds_read2_b32 v[32:33], v44 offset0:88 offset1:208
	;; [unrolled: 1-line block ×6, first 2 shown]
	v_lshrrev_b32_e32 v52, 16, v22
	s_waitcnt lgkmcnt(5)
	v_lshrrev_b32_e32 v54, 16, v31
	v_lshrrev_b32_e32 v55, 16, v30
	;; [unrolled: 1-line block ×3, first 2 shown]
	s_mov_b32 s5, 0xb9a8
	s_movk_i32 s7, 0x39a8
	s_mov_b32 s9, 0xbb64
	s_mov_b32 s10, 0xb61f
	s_movk_i32 s11, 0x361f
	s_movk_i32 s12, 0x3b64
	v_cmp_lt_u32_e32 vcc, 59, v0
	s_waitcnt vmcnt(0) lgkmcnt(0)
	s_barrier
	s_movk_i32 s4, 0x1000
	v_mul_f16_sdwa v58, v11, v53 dst_sel:DWORD dst_unused:UNUSED_PAD src0_sel:WORD_1 src1_sel:DWORD
	v_mul_f16_sdwa v56, v10, v52 dst_sel:DWORD dst_unused:UNUSED_PAD src0_sel:WORD_1 src1_sel:DWORD
	v_mul_f16_sdwa v57, v10, v22 dst_sel:DWORD dst_unused:UNUSED_PAD src0_sel:WORD_1 src1_sel:DWORD
	v_mul_f16_sdwa v59, v11, v23 dst_sel:DWORD dst_unused:UNUSED_PAD src0_sel:WORD_1 src1_sel:DWORD
	v_mul_f16_sdwa v60, v12, v55 dst_sel:DWORD dst_unused:UNUSED_PAD src0_sel:WORD_1 src1_sel:DWORD
	v_fma_f16 v23, v11, v23, -v58
	v_mul_f16_sdwa v58, v54, v13 dst_sel:DWORD dst_unused:UNUSED_PAD src0_sel:DWORD src1_sel:WORD_1
	v_fma_f16 v22, v10, v22, -v56
	v_mul_f16_sdwa v56, v12, v30 dst_sel:DWORD dst_unused:UNUSED_PAD src0_sel:WORD_1 src1_sel:DWORD
	v_fma_f16 v30, v12, v30, -v60
	v_fma_f16 v58, v31, v13, -v58
	v_mul_f16_sdwa v31, v31, v13 dst_sel:DWORD dst_unused:UNUSED_PAD src0_sel:DWORD src1_sel:WORD_1
	v_lshrrev_b32_e32 v60, 16, v32
	v_fma_f16 v10, v10, v52, v57
	v_lshrrev_b32_e32 v52, 16, v33
	v_fma_f16 v11, v11, v53, v59
	v_lshrrev_b32_e32 v53, 16, v34
	v_fma_f16 v12, v12, v55, v56
	v_lshrrev_b32_e32 v55, 16, v35
	v_fma_f16 v13, v54, v13, v31
	v_mul_f16_sdwa v31, v60, v14 dst_sel:DWORD dst_unused:UNUSED_PAD src0_sel:DWORD src1_sel:WORD_1
	v_mul_f16_sdwa v56, v52, v15 dst_sel:DWORD dst_unused:UNUSED_PAD src0_sel:DWORD src1_sel:WORD_1
	;; [unrolled: 1-line block ×4, first 2 shown]
	v_fma_f16 v31, v32, v14, -v31
	v_fma_f16 v32, v33, v15, -v56
	v_mul_f16_sdwa v56, v55, v17 dst_sel:DWORD dst_unused:UNUSED_PAD src0_sel:DWORD src1_sel:WORD_1
	v_mul_f16_sdwa v57, v33, v15 dst_sel:DWORD dst_unused:UNUSED_PAD src0_sel:DWORD src1_sel:WORD_1
	;; [unrolled: 1-line block ×3, first 2 shown]
	v_fma_f16 v34, v34, v16, -v59
	v_fma_f16 v56, v35, v17, -v56
	v_mul_f16_sdwa v35, v35, v17 dst_sel:DWORD dst_unused:UNUSED_PAD src0_sel:DWORD src1_sel:WORD_1
	v_lshrrev_b32_e32 v59, 16, v36
	v_fma_f16 v14, v60, v14, v54
	v_lshrrev_b32_e32 v54, 16, v37
	v_fma_f16 v15, v52, v15, v57
	;; [unrolled: 2-line block ×3, first 2 shown]
	v_mul_f16_sdwa v55, v59, v18 dst_sel:DWORD dst_unused:UNUSED_PAD src0_sel:DWORD src1_sel:WORD_1
	v_mul_f16_sdwa v57, v36, v18 dst_sel:DWORD dst_unused:UNUSED_PAD src0_sel:DWORD src1_sel:WORD_1
	;; [unrolled: 1-line block ×3, first 2 shown]
	v_fma_f16 v57, v59, v18, v57
	v_mul_f16_sdwa v59, v37, v19 dst_sel:DWORD dst_unused:UNUSED_PAD src0_sel:DWORD src1_sel:WORD_1
	v_fma_f16 v18, v36, v18, -v55
	v_fma_f16 v36, v37, v19, -v60
	v_mul_f16_sdwa v37, v52, v20 dst_sel:DWORD dst_unused:UNUSED_PAD src0_sel:DWORD src1_sel:WORD_1
	v_fma_f16 v16, v53, v16, v33
	v_lshrrev_b32_e32 v33, 16, v39
	v_fma_f16 v37, v38, v20, -v37
	v_mul_f16_sdwa v38, v38, v20 dst_sel:DWORD dst_unused:UNUSED_PAD src0_sel:DWORD src1_sel:WORD_1
	v_fma_f16 v20, v52, v20, v38
	v_mul_f16_sdwa v38, v33, v21 dst_sel:DWORD dst_unused:UNUSED_PAD src0_sel:DWORD src1_sel:WORD_1
	v_lshrrev_b32_e32 v35, 16, v40
	v_fma_f16 v38, v39, v21, -v38
	v_mul_f16_sdwa v39, v39, v21 dst_sel:DWORD dst_unused:UNUSED_PAD src0_sel:DWORD src1_sel:WORD_1
	v_lshrrev_b32_e32 v53, 16, v41
	v_fma_f16 v21, v33, v21, v39
	v_mul_f16_sdwa v33, v35, v27 dst_sel:DWORD dst_unused:UNUSED_PAD src0_sel:DWORD src1_sel:WORD_1
	v_mul_f16_sdwa v39, v40, v27 dst_sel:DWORD dst_unused:UNUSED_PAD src0_sel:DWORD src1_sel:WORD_1
	v_fma_f16 v33, v40, v27, -v33
	v_fma_f16 v27, v35, v27, v39
	v_mul_f16_sdwa v35, v53, v28 dst_sel:DWORD dst_unused:UNUSED_PAD src0_sel:DWORD src1_sel:WORD_1
	v_mul_f16_sdwa v39, v41, v28 dst_sel:DWORD dst_unused:UNUSED_PAD src0_sel:DWORD src1_sel:WORD_1
	v_fma_f16 v35, v41, v28, -v35
	v_fma_f16 v28, v53, v28, v39
	v_mul_f16_sdwa v39, v51, v29 dst_sel:DWORD dst_unused:UNUSED_PAD src0_sel:DWORD src1_sel:WORD_1
	v_mul_f16_sdwa v40, v50, v29 dst_sel:DWORD dst_unused:UNUSED_PAD src0_sel:DWORD src1_sel:WORD_1
	v_fma_f16 v19, v54, v19, v59
	v_fma_f16 v39, v50, v29, -v39
	v_fma_f16 v29, v51, v29, v40
	v_lshrrev_b32_e32 v40, 16, v49
	v_sub_f16_e32 v41, v49, v56
	v_sub_f16_e32 v21, v13, v21
	;; [unrolled: 1-line block ×6, first 2 shown]
	v_fma_f16 v13, v13, 2.0, -v21
	v_sub_f16_e32 v19, v11, v19
	v_sub_f16_e32 v35, v32, v35
	v_fma_f16 v15, v15, 2.0, -v28
	v_sub_f16_e32 v21, v41, v21
	v_sub_f16_e32 v28, v36, v28
	v_fma_f16 v49, v49, 2.0, -v41
	v_fma_f16 v50, v58, 2.0, -v38
	;; [unrolled: 1-line block ×4, first 2 shown]
	v_sub_f16_e32 v18, v22, v18
	v_sub_f16_e32 v27, v14, v27
	;; [unrolled: 1-line block ×4, first 2 shown]
	v_add_f16_e32 v38, v17, v38
	v_fma_f16 v41, v41, 2.0, -v21
	v_add_f16_e32 v35, v19, v35
	v_fma_f16 v36, v36, 2.0, -v28
	v_fma_f16 v40, v40, 2.0, -v17
	;; [unrolled: 1-line block ×3, first 2 shown]
	v_sub_f16_e32 v51, v10, v57
	v_sub_f16_e32 v33, v31, v33
	v_fma_f16 v14, v14, 2.0, -v27
	v_sub_f16_e32 v20, v12, v20
	v_sub_f16_e32 v39, v34, v39
	v_fma_f16 v16, v16, 2.0, -v29
	v_fma_f16 v17, v17, 2.0, -v38
	;; [unrolled: 1-line block ×3, first 2 shown]
	v_sub_f16_e32 v27, v18, v27
	v_sub_f16_e32 v29, v37, v29
	v_fma_f16 v52, v36, s5, v41
	v_fma_f16 v22, v22, 2.0, -v18
	v_fma_f16 v31, v31, 2.0, -v33
	;; [unrolled: 1-line block ×4, first 2 shown]
	v_add_f16_e32 v33, v51, v33
	v_fma_f16 v18, v18, 2.0, -v27
	v_add_f16_e32 v39, v20, v39
	v_fma_f16 v37, v37, 2.0, -v29
	v_fma_f16 v53, v19, s5, v17
	v_fma_f16 v19, v19, s5, v52
	v_fma_f16 v52, v28, s7, v21
	v_fma_f16 v10, v10, 2.0, -v51
	v_fma_f16 v12, v12, 2.0, -v20
	;; [unrolled: 1-line block ×4, first 2 shown]
	v_fma_f16 v36, v36, s7, v53
	v_fma_f16 v53, v35, s7, v38
	;; [unrolled: 1-line block ×4, first 2 shown]
	v_sub_f16_e32 v50, v49, v50
	v_sub_f16_e32 v15, v11, v15
	;; [unrolled: 1-line block ×4, first 2 shown]
	v_fma_f16 v28, v28, s7, v53
	v_fma_f16 v53, v20, s5, v51
	;; [unrolled: 1-line block ×3, first 2 shown]
	v_sub_f16_e32 v13, v40, v13
	v_sub_f16_e32 v32, v23, v32
	v_fma_f16 v11, v11, 2.0, -v15
	v_sub_f16_e32 v14, v10, v14
	v_sub_f16_e32 v34, v30, v34
	v_fma_f16 v12, v12, 2.0, -v16
	v_fma_f16 v41, v41, 2.0, -v19
	v_sub_f16_e32 v15, v50, v15
	v_fma_f16 v37, v37, s7, v53
	v_fma_f16 v18, v18, 2.0, -v20
	v_sub_f16_e32 v16, v31, v16
	v_fma_f16 v52, v29, s7, v27
	v_fma_f16 v49, v49, 2.0, -v50
	v_fma_f16 v23, v23, 2.0, -v32
	;; [unrolled: 1-line block ×5, first 2 shown]
	v_add_f16_e32 v32, v13, v32
	v_fma_f16 v50, v50, 2.0, -v15
	v_fma_f16 v51, v51, 2.0, -v37
	v_add_f16_e32 v34, v14, v34
	v_fma_f16 v31, v31, 2.0, -v16
	v_fma_f16 v53, v39, s7, v33
	v_fma_f16 v39, v39, s5, v52
	;; [unrolled: 1-line block ×3, first 2 shown]
	v_fma_f16 v40, v40, 2.0, -v13
	v_fma_f16 v10, v10, 2.0, -v14
	;; [unrolled: 1-line block ×5, first 2 shown]
	v_fma_f16 v29, v29, s7, v53
	v_fma_f16 v27, v27, 2.0, -v39
	v_fma_f16 v53, v51, s9, v17
	v_fma_f16 v51, v51, s10, v52
	;; [unrolled: 1-line block ×3, first 2 shown]
	v_fma_f16 v38, v38, 2.0, -v28
	v_fma_f16 v33, v33, 2.0, -v29
	v_fma_f16 v18, v18, s11, v53
	v_fma_f16 v53, v14, s5, v13
	;; [unrolled: 1-line block ×16, first 2 shown]
	v_sub_f16_e32 v23, v49, v23
	v_sub_f16_e32 v11, v40, v11
	;; [unrolled: 1-line block ×4, first 2 shown]
	v_fma_f16 v16, v16, s7, v53
	v_fma_f16 v53, v29, s12, v28
	;; [unrolled: 1-line block ×3, first 2 shown]
	v_mov_b32_e32 v52, 0x3c0
	v_fma_f16 v49, v49, 2.0, -v23
	v_fma_f16 v40, v40, 2.0, -v11
	;; [unrolled: 1-line block ×4, first 2 shown]
	v_cndmask_b32_e32 v52, 0, v52, vcc
	v_sub_f16_e32 v22, v49, v22
	v_sub_f16_e32 v10, v40, v10
	v_or_b32_e32 v42, v52, v42
	v_fma_f16 v49, v49, 2.0, -v22
	v_fma_f16 v40, v40, 2.0, -v10
	;; [unrolled: 1-line block ×4, first 2 shown]
	v_lshlrev_b32_e32 v42, 2, v42
	v_fma_f16 v50, v50, 2.0, -v14
	v_fma_f16 v13, v13, 2.0, -v31
	;; [unrolled: 1-line block ×4, first 2 shown]
	v_sub_f16_e32 v12, v23, v12
	v_add_f16_e32 v30, v11, v30
	v_add3_u32 v25, 0, v42, v25
	v_pack_b32_f16 v40, v49, v40
	v_pack_b32_f16 v17, v41, v17
	v_fma_f16 v23, v23, 2.0, -v12
	v_fma_f16 v11, v11, 2.0, -v30
	;; [unrolled: 1-line block ×4, first 2 shown]
	v_fma_f16 v39, v39, s11, v53
	ds_write2_b32 v25, v40, v17 offset1:60
	v_pack_b32_f16 v13, v50, v13
	v_pack_b32_f16 v17, v21, v38
	v_fma_f16 v15, v15, 2.0, -v34
	v_fma_f16 v32, v32, 2.0, -v16
	;; [unrolled: 1-line block ×4, first 2 shown]
	ds_write2_b32 v25, v13, v17 offset0:120 offset1:180
	v_pack_b32_f16 v11, v23, v11
	v_pack_b32_f16 v13, v19, v36
	v_add_u32_e32 v17, 0x200, v25
	ds_write2_b32 v17, v11, v13 offset0:112 offset1:172
	v_pack_b32_f16 v11, v15, v32
	v_pack_b32_f16 v13, v35, v28
	v_add_u32_e32 v15, 0x400, v25
	;; [unrolled: 4-line block ×5, first 2 shown]
	v_add_co_u32_e32 v4, vcc, s8, v4
	ds_write2_b32 v12, v10, v11 offset0:80 offset1:140
	v_pack_b32_f16 v10, v34, v16
	v_pack_b32_f16 v11, v29, v39
	v_add_u32_e32 v12, 0xc00, v25
	v_addc_co_u32_e32 v5, vcc, v8, v5, vcc
	ds_write2_b32 v12, v10, v11 offset0:72 offset1:132
	s_waitcnt lgkmcnt(0)
	s_barrier
	global_load_dword v18, v[4:5], off offset:3800
	v_add_co_u32_e32 v4, vcc, s8, v6
	v_addc_co_u32_e32 v5, vcc, v8, v7, vcc
	v_add_co_u32_e32 v4, vcc, s4, v4
	v_addc_co_u32_e32 v5, vcc, 0, v5, vcc
	global_load_dword v8, v[4:5], off offset:184
	global_load_dword v19, v[4:5], off offset:664
	;; [unrolled: 1-line block ×7, first 2 shown]
	ds_read2_b32 v[4:5], v45 offset0:72 offset1:192
	ds_read2_b32 v[6:7], v1 offset0:120 offset1:240
	;; [unrolled: 1-line block ×6, first 2 shown]
	ds_read_b32 v26, v26
	s_waitcnt vmcnt(7) lgkmcnt(6)
	v_pk_mul_f16 v27, v18, v5 op_sel:[0,1]
	v_pk_fma_f16 v28, v18, v5, v27 op_sel:[0,0,1] op_sel_hi:[1,1,0] neg_lo:[0,0,1] neg_hi:[0,0,1]
	v_pk_fma_f16 v5, v18, v5, v27 op_sel:[0,0,1] op_sel_hi:[1,0,0]
	ds_read_b32 v18, v1 offset:7200
	v_bfi_b32 v5, s6, v28, v5
	s_waitcnt lgkmcnt(1)
	v_pk_add_f16 v27, v26, v5 neg_lo:[0,1] neg_hi:[0,1]
	s_waitcnt vmcnt(6)
	v_pk_mul_f16 v5, v8, v10 op_sel:[0,1]
	v_pk_fma_f16 v28, v8, v10, v5 op_sel:[0,0,1] op_sel_hi:[1,1,0] neg_lo:[0,0,1] neg_hi:[0,0,1]
	v_pk_fma_f16 v5, v8, v10, v5 op_sel:[0,0,1] op_sel_hi:[1,0,0]
	v_bfi_b32 v5, s6, v28, v5
	v_pk_add_f16 v8, v6, v5 neg_lo:[0,1] neg_hi:[0,1]
	s_waitcnt vmcnt(5)
	v_pk_mul_f16 v5, v19, v11 op_sel:[0,1]
	v_pk_fma_f16 v10, v6, 2.0, v8 op_sel_hi:[1,0,1] neg_lo:[0,0,1] neg_hi:[0,0,1]
	v_pk_fma_f16 v6, v19, v11, v5 op_sel:[0,0,1] op_sel_hi:[1,1,0] neg_lo:[0,0,1] neg_hi:[0,0,1]
	v_pk_fma_f16 v5, v19, v11, v5 op_sel:[0,0,1] op_sel_hi:[1,0,0]
	v_bfi_b32 v5, s6, v6, v5
	v_pk_add_f16 v11, v7, v5 neg_lo:[0,1] neg_hi:[0,1]
	s_waitcnt vmcnt(4)
	v_pk_mul_f16 v5, v20, v14 op_sel:[0,1]
	v_pk_fma_f16 v6, v20, v14, v5 op_sel:[0,0,1] op_sel_hi:[1,1,0] neg_lo:[0,0,1] neg_hi:[0,0,1]
	v_pk_fma_f16 v5, v20, v14, v5 op_sel:[0,0,1] op_sel_hi:[1,0,0]
	v_bfi_b32 v5, s6, v6, v5
	v_pk_add_f16 v14, v12, v5 neg_lo:[0,1] neg_hi:[0,1]
	ds_read2_b32 v[5:6], v48 offset0:24 offset1:144
	s_waitcnt vmcnt(1)
	v_pk_mul_f16 v19, v15, v23 op_sel:[0,1]
	v_pk_fma_f16 v20, v15, v23, v19 op_sel:[0,0,1] op_sel_hi:[1,1,0] neg_lo:[0,0,1] neg_hi:[0,0,1]
	v_pk_fma_f16 v15, v15, v23, v19 op_sel:[0,0,1] op_sel_hi:[1,0,0]
	v_bfi_b32 v15, s6, v20, v15
	s_waitcnt vmcnt(0) lgkmcnt(0)
	v_pk_mul_f16 v19, v5, v25 op_sel:[0,1]
	v_pk_fma_f16 v20, v5, v25, v19 op_sel:[0,0,1] op_sel_hi:[1,1,0] neg_lo:[0,0,1] neg_hi:[0,0,1]
	v_pk_fma_f16 v5, v5, v25, v19 op_sel:[0,0,1] op_sel_hi:[1,0,0]
	v_pk_mul_f16 v19, v6, v21 op_sel:[0,1]
	v_bfi_b32 v5, s6, v20, v5
	v_pk_fma_f16 v20, v6, v21, v19 op_sel:[0,0,1] op_sel_hi:[1,1,0] neg_lo:[0,0,1] neg_hi:[0,0,1]
	v_pk_fma_f16 v6, v6, v21, v19 op_sel:[0,0,1] op_sel_hi:[1,0,0]
	v_pk_mul_f16 v19, v18, v22 op_sel:[0,1]
	v_bfi_b32 v6, s6, v20, v6
	v_pk_fma_f16 v20, v18, v22, v19 op_sel:[0,0,1] op_sel_hi:[1,1,0] neg_lo:[0,0,1] neg_hi:[0,0,1]
	v_pk_fma_f16 v18, v18, v22, v19 op_sel:[0,0,1] op_sel_hi:[1,0,0]
	v_pk_fma_f16 v26, v26, 2.0, v27 op_sel_hi:[1,0,1] neg_lo:[0,0,1] neg_hi:[0,0,1]
	v_pk_fma_f16 v7, v7, 2.0, v11 op_sel_hi:[1,0,1] neg_lo:[0,0,1] neg_hi:[0,0,1]
	;; [unrolled: 1-line block ×3, first 2 shown]
	v_pk_add_f16 v15, v13, v15 neg_lo:[0,1] neg_hi:[0,1]
	v_pk_add_f16 v5, v16, v5 neg_lo:[0,1] neg_hi:[0,1]
	v_bfi_b32 v18, s6, v20, v18
	s_barrier
	ds_write_b32 v1, v27 offset:3840
	ds_write2_b32 v1, v26, v10 offset1:120
	ds_write2_b32 v46, v8, v11 offset0:56 offset1:176
	v_add_u32_e32 v8, 0x200, v1
	v_pk_fma_f16 v13, v13, 2.0, v15 op_sel_hi:[1,0,1] neg_lo:[0,0,1] neg_hi:[0,0,1]
	v_pk_fma_f16 v16, v16, 2.0, v5 op_sel_hi:[1,0,1] neg_lo:[0,0,1] neg_hi:[0,0,1]
	v_pk_add_f16 v6, v17, v6 neg_lo:[0,1] neg_hi:[0,1]
	v_pk_add_f16 v18, v4, v18 neg_lo:[0,1] neg_hi:[0,1]
	ds_write2_b32 v8, v7, v12 offset0:112 offset1:232
	ds_write2_b32 v47, v14, v15 offset0:40 offset1:160
	v_add_u32_e32 v7, 0x600, v1
	v_pk_fma_f16 v17, v17, 2.0, v6 op_sel_hi:[1,0,1] neg_lo:[0,0,1] neg_hi:[0,0,1]
	v_pk_fma_f16 v4, v4, 2.0, v18 op_sel_hi:[1,0,1] neg_lo:[0,0,1] neg_hi:[0,0,1]
	ds_write2_b32 v7, v13, v16 offset0:96 offset1:216
	ds_write2_b32 v48, v5, v6 offset0:24 offset1:144
	v_add_u32_e32 v5, 0xa00, v1
	ds_write2_b32 v5, v17, v4 offset0:80 offset1:200
	ds_write_b32 v1, v18 offset:7200
	s_waitcnt lgkmcnt(0)
	s_barrier
	s_and_saveexec_b64 s[4:5], s[0:1]
	s_cbranch_execz .LBB0_25
; %bb.24:
	v_lshl_add_u32 v6, v0, 2, v24
	v_mov_b32_e32 v1, v9
	ds_read2_b32 v[4:5], v6 offset1:120
	v_mov_b32_e32 v7, s3
	v_add_co_u32_e32 v10, vcc, s2, v2
	v_lshlrev_b64 v[1:2], 2, v[0:1]
	v_addc_co_u32_e32 v7, vcc, v7, v3, vcc
	v_add_co_u32_e32 v1, vcc, v10, v1
	v_addc_co_u32_e32 v2, vcc, v7, v2, vcc
	v_add_u32_e32 v8, 0x78, v0
	s_waitcnt lgkmcnt(0)
	global_store_dword v[1:2], v4, off
	v_lshlrev_b64 v[1:2], 2, v[8:9]
	v_add_u32_e32 v8, 0xf0, v0
	v_add_co_u32_e32 v1, vcc, v10, v1
	v_addc_co_u32_e32 v2, vcc, v7, v2, vcc
	global_store_dword v[1:2], v5, off
	v_add_u32_e32 v1, 0x200, v6
	ds_read2_b32 v[1:2], v1 offset0:112 offset1:232
	v_lshlrev_b64 v[3:4], 2, v[8:9]
	v_add_u32_e32 v8, 0x168, v0
	v_add_co_u32_e32 v3, vcc, v10, v3
	v_addc_co_u32_e32 v4, vcc, v7, v4, vcc
	s_waitcnt lgkmcnt(0)
	global_store_dword v[3:4], v1, off
	v_lshlrev_b64 v[3:4], 2, v[8:9]
	v_add_u32_e32 v1, 0x600, v6
	v_add_co_u32_e32 v3, vcc, v10, v3
	v_addc_co_u32_e32 v4, vcc, v7, v4, vcc
	global_store_dword v[3:4], v2, off
	v_add_u32_e32 v8, 0x1e0, v0
	ds_read2_b32 v[1:2], v1 offset0:96 offset1:216
	v_lshlrev_b64 v[3:4], 2, v[8:9]
	v_add_u32_e32 v8, 0x258, v0
	v_add_co_u32_e32 v3, vcc, v10, v3
	v_addc_co_u32_e32 v4, vcc, v7, v4, vcc
	;; [unrolled: 13-line block ×7, first 2 shown]
	s_waitcnt lgkmcnt(0)
	global_store_dword v[3:4], v1, off
	v_lshlrev_b64 v[0:1], 2, v[8:9]
	v_add_co_u32_e32 v0, vcc, v10, v0
	v_addc_co_u32_e32 v1, vcc, v7, v1, vcc
	global_store_dword v[0:1], v2, off
.LBB0_25:
	s_endpgm
	.section	.rodata,"a",@progbits
	.p2align	6, 0x0
	.amdhsa_kernel fft_rtc_fwd_len1920_factors_10_6_16_2_wgs_240_tpt_120_halfLds_half_ip_CI_unitstride_sbrr_C2R_dirReg
		.amdhsa_group_segment_fixed_size 0
		.amdhsa_private_segment_fixed_size 0
		.amdhsa_kernarg_size 88
		.amdhsa_user_sgpr_count 6
		.amdhsa_user_sgpr_private_segment_buffer 1
		.amdhsa_user_sgpr_dispatch_ptr 0
		.amdhsa_user_sgpr_queue_ptr 0
		.amdhsa_user_sgpr_kernarg_segment_ptr 1
		.amdhsa_user_sgpr_dispatch_id 0
		.amdhsa_user_sgpr_flat_scratch_init 0
		.amdhsa_user_sgpr_private_segment_size 0
		.amdhsa_uses_dynamic_stack 0
		.amdhsa_system_sgpr_private_segment_wavefront_offset 0
		.amdhsa_system_sgpr_workgroup_id_x 1
		.amdhsa_system_sgpr_workgroup_id_y 0
		.amdhsa_system_sgpr_workgroup_id_z 0
		.amdhsa_system_sgpr_workgroup_info 0
		.amdhsa_system_vgpr_workitem_id 0
		.amdhsa_next_free_vgpr 61
		.amdhsa_next_free_sgpr 22
		.amdhsa_reserve_vcc 1
		.amdhsa_reserve_flat_scratch 0
		.amdhsa_float_round_mode_32 0
		.amdhsa_float_round_mode_16_64 0
		.amdhsa_float_denorm_mode_32 3
		.amdhsa_float_denorm_mode_16_64 3
		.amdhsa_dx10_clamp 1
		.amdhsa_ieee_mode 1
		.amdhsa_fp16_overflow 0
		.amdhsa_exception_fp_ieee_invalid_op 0
		.amdhsa_exception_fp_denorm_src 0
		.amdhsa_exception_fp_ieee_div_zero 0
		.amdhsa_exception_fp_ieee_overflow 0
		.amdhsa_exception_fp_ieee_underflow 0
		.amdhsa_exception_fp_ieee_inexact 0
		.amdhsa_exception_int_div_zero 0
	.end_amdhsa_kernel
	.text
.Lfunc_end0:
	.size	fft_rtc_fwd_len1920_factors_10_6_16_2_wgs_240_tpt_120_halfLds_half_ip_CI_unitstride_sbrr_C2R_dirReg, .Lfunc_end0-fft_rtc_fwd_len1920_factors_10_6_16_2_wgs_240_tpt_120_halfLds_half_ip_CI_unitstride_sbrr_C2R_dirReg
                                        ; -- End function
	.section	.AMDGPU.csdata,"",@progbits
; Kernel info:
; codeLenInByte = 10964
; NumSgprs: 26
; NumVgprs: 61
; ScratchSize: 0
; MemoryBound: 0
; FloatMode: 240
; IeeeMode: 1
; LDSByteSize: 0 bytes/workgroup (compile time only)
; SGPRBlocks: 3
; VGPRBlocks: 15
; NumSGPRsForWavesPerEU: 26
; NumVGPRsForWavesPerEU: 61
; Occupancy: 4
; WaveLimiterHint : 1
; COMPUTE_PGM_RSRC2:SCRATCH_EN: 0
; COMPUTE_PGM_RSRC2:USER_SGPR: 6
; COMPUTE_PGM_RSRC2:TRAP_HANDLER: 0
; COMPUTE_PGM_RSRC2:TGID_X_EN: 1
; COMPUTE_PGM_RSRC2:TGID_Y_EN: 0
; COMPUTE_PGM_RSRC2:TGID_Z_EN: 0
; COMPUTE_PGM_RSRC2:TIDIG_COMP_CNT: 0
	.type	__hip_cuid_e9c2c7f42dcae8e6,@object ; @__hip_cuid_e9c2c7f42dcae8e6
	.section	.bss,"aw",@nobits
	.globl	__hip_cuid_e9c2c7f42dcae8e6
__hip_cuid_e9c2c7f42dcae8e6:
	.byte	0                               ; 0x0
	.size	__hip_cuid_e9c2c7f42dcae8e6, 1

	.ident	"AMD clang version 19.0.0git (https://github.com/RadeonOpenCompute/llvm-project roc-6.4.0 25133 c7fe45cf4b819c5991fe208aaa96edf142730f1d)"
	.section	".note.GNU-stack","",@progbits
	.addrsig
	.addrsig_sym __hip_cuid_e9c2c7f42dcae8e6
	.amdgpu_metadata
---
amdhsa.kernels:
  - .args:
      - .actual_access:  read_only
        .address_space:  global
        .offset:         0
        .size:           8
        .value_kind:     global_buffer
      - .offset:         8
        .size:           8
        .value_kind:     by_value
      - .actual_access:  read_only
        .address_space:  global
        .offset:         16
        .size:           8
        .value_kind:     global_buffer
      - .actual_access:  read_only
        .address_space:  global
        .offset:         24
        .size:           8
        .value_kind:     global_buffer
      - .offset:         32
        .size:           8
        .value_kind:     by_value
      - .actual_access:  read_only
        .address_space:  global
        .offset:         40
        .size:           8
        .value_kind:     global_buffer
      - .actual_access:  read_only
        .address_space:  global
        .offset:         48
        .size:           8
        .value_kind:     global_buffer
      - .offset:         56
        .size:           4
        .value_kind:     by_value
      - .actual_access:  read_only
        .address_space:  global
        .offset:         64
        .size:           8
        .value_kind:     global_buffer
      - .actual_access:  read_only
        .address_space:  global
        .offset:         72
        .size:           8
        .value_kind:     global_buffer
      - .address_space:  global
        .offset:         80
        .size:           8
        .value_kind:     global_buffer
    .group_segment_fixed_size: 0
    .kernarg_segment_align: 8
    .kernarg_segment_size: 88
    .language:       OpenCL C
    .language_version:
      - 2
      - 0
    .max_flat_workgroup_size: 240
    .name:           fft_rtc_fwd_len1920_factors_10_6_16_2_wgs_240_tpt_120_halfLds_half_ip_CI_unitstride_sbrr_C2R_dirReg
    .private_segment_fixed_size: 0
    .sgpr_count:     26
    .sgpr_spill_count: 0
    .symbol:         fft_rtc_fwd_len1920_factors_10_6_16_2_wgs_240_tpt_120_halfLds_half_ip_CI_unitstride_sbrr_C2R_dirReg.kd
    .uniform_work_group_size: 1
    .uses_dynamic_stack: false
    .vgpr_count:     61
    .vgpr_spill_count: 0
    .wavefront_size: 64
amdhsa.target:   amdgcn-amd-amdhsa--gfx906
amdhsa.version:
  - 1
  - 2
...

	.end_amdgpu_metadata
